;; amdgpu-corpus repo=ROCm/rocFFT kind=compiled arch=gfx906 opt=O3
	.text
	.amdgcn_target "amdgcn-amd-amdhsa--gfx906"
	.amdhsa_code_object_version 6
	.protected	fft_rtc_fwd_len288_factors_6_6_4_2_wgs_120_tpt_24_halfLds_dp_op_CI_CI_unitstride_sbrr_R2C_dirReg ; -- Begin function fft_rtc_fwd_len288_factors_6_6_4_2_wgs_120_tpt_24_halfLds_dp_op_CI_CI_unitstride_sbrr_R2C_dirReg
	.globl	fft_rtc_fwd_len288_factors_6_6_4_2_wgs_120_tpt_24_halfLds_dp_op_CI_CI_unitstride_sbrr_R2C_dirReg
	.p2align	8
	.type	fft_rtc_fwd_len288_factors_6_6_4_2_wgs_120_tpt_24_halfLds_dp_op_CI_CI_unitstride_sbrr_R2C_dirReg,@function
fft_rtc_fwd_len288_factors_6_6_4_2_wgs_120_tpt_24_halfLds_dp_op_CI_CI_unitstride_sbrr_R2C_dirReg: ; @fft_rtc_fwd_len288_factors_6_6_4_2_wgs_120_tpt_24_halfLds_dp_op_CI_CI_unitstride_sbrr_R2C_dirReg
; %bb.0:
	s_load_dwordx4 s[8:11], s[4:5], 0x58
	s_load_dwordx4 s[12:15], s[4:5], 0x0
	;; [unrolled: 1-line block ×3, first 2 shown]
	v_mul_u32_u24_e32 v1, 0xaab, v0
	v_lshrrev_b32_e32 v1, 16, v1
	v_mad_u64_u32 v[1:2], s[0:1], s6, 5, v[1:2]
	v_mov_b32_e32 v3, 0
	v_mov_b32_e32 v2, v3
	s_waitcnt lgkmcnt(0)
	v_cmp_lt_u64_e64 s[0:1], s[14:15], 2
	v_mov_b32_e32 v18, 0
	v_mov_b32_e32 v19, 0
	;; [unrolled: 1-line block ×4, first 2 shown]
	s_and_b64 vcc, exec, s[0:1]
	v_mov_b32_e32 v9, v19
	v_mov_b32_e32 v12, v1
	s_cbranch_vccnz .LBB0_8
; %bb.1:
	s_load_dwordx2 s[0:1], s[4:5], 0x10
	s_add_u32 s2, s18, 8
	s_addc_u32 s3, s19, 0
	s_add_u32 s6, s16, 8
	s_addc_u32 s7, s17, 0
	v_mov_b32_e32 v18, 0
	s_waitcnt lgkmcnt(0)
	s_add_u32 s20, s0, 8
	v_mov_b32_e32 v19, 0
	v_mov_b32_e32 v8, v18
	;; [unrolled: 1-line block ×3, first 2 shown]
	s_addc_u32 s21, s1, 0
	s_mov_b64 s[22:23], 1
	v_mov_b32_e32 v9, v19
	v_mov_b32_e32 v5, v1
.LBB0_2:                                ; =>This Inner Loop Header: Depth=1
	s_load_dwordx2 s[24:25], s[20:21], 0x0
                                        ; implicit-def: $vgpr12_vgpr13
	s_waitcnt lgkmcnt(0)
	v_or_b32_e32 v4, s25, v6
	v_cmp_ne_u64_e32 vcc, 0, v[3:4]
	s_and_saveexec_b64 s[0:1], vcc
	s_xor_b64 s[26:27], exec, s[0:1]
	s_cbranch_execz .LBB0_4
; %bb.3:                                ;   in Loop: Header=BB0_2 Depth=1
	v_cvt_f32_u32_e32 v2, s24
	v_cvt_f32_u32_e32 v4, s25
	s_sub_u32 s0, 0, s24
	s_subb_u32 s1, 0, s25
	v_mac_f32_e32 v2, 0x4f800000, v4
	v_rcp_f32_e32 v2, v2
	v_mul_f32_e32 v2, 0x5f7ffffc, v2
	v_mul_f32_e32 v4, 0x2f800000, v2
	v_trunc_f32_e32 v4, v4
	v_mac_f32_e32 v2, 0xcf800000, v4
	v_cvt_u32_f32_e32 v4, v4
	v_cvt_u32_f32_e32 v2, v2
	v_mul_lo_u32 v7, s0, v4
	v_mul_hi_u32 v10, s0, v2
	v_mul_lo_u32 v12, s1, v2
	v_mul_lo_u32 v11, s0, v2
	v_add_u32_e32 v7, v10, v7
	v_add_u32_e32 v7, v7, v12
	v_mul_hi_u32 v10, v2, v11
	v_mul_lo_u32 v12, v2, v7
	v_mul_hi_u32 v14, v2, v7
	v_mul_hi_u32 v13, v4, v11
	v_mul_lo_u32 v11, v4, v11
	v_mul_hi_u32 v15, v4, v7
	v_add_co_u32_e32 v10, vcc, v10, v12
	v_addc_co_u32_e32 v12, vcc, 0, v14, vcc
	v_mul_lo_u32 v7, v4, v7
	v_add_co_u32_e32 v10, vcc, v10, v11
	v_addc_co_u32_e32 v10, vcc, v12, v13, vcc
	v_addc_co_u32_e32 v11, vcc, 0, v15, vcc
	v_add_co_u32_e32 v7, vcc, v10, v7
	v_addc_co_u32_e32 v10, vcc, 0, v11, vcc
	v_add_co_u32_e32 v2, vcc, v2, v7
	v_addc_co_u32_e32 v4, vcc, v4, v10, vcc
	v_mul_lo_u32 v7, s0, v4
	v_mul_hi_u32 v10, s0, v2
	v_mul_lo_u32 v11, s1, v2
	v_mul_lo_u32 v12, s0, v2
	v_add_u32_e32 v7, v10, v7
	v_add_u32_e32 v7, v7, v11
	v_mul_lo_u32 v13, v2, v7
	v_mul_hi_u32 v14, v2, v12
	v_mul_hi_u32 v15, v2, v7
	;; [unrolled: 1-line block ×3, first 2 shown]
	v_mul_lo_u32 v12, v4, v12
	v_mul_hi_u32 v10, v4, v7
	v_add_co_u32_e32 v13, vcc, v14, v13
	v_addc_co_u32_e32 v14, vcc, 0, v15, vcc
	v_mul_lo_u32 v7, v4, v7
	v_add_co_u32_e32 v12, vcc, v13, v12
	v_addc_co_u32_e32 v11, vcc, v14, v11, vcc
	v_addc_co_u32_e32 v10, vcc, 0, v10, vcc
	v_add_co_u32_e32 v7, vcc, v11, v7
	v_addc_co_u32_e32 v10, vcc, 0, v10, vcc
	v_add_co_u32_e32 v2, vcc, v2, v7
	v_addc_co_u32_e32 v4, vcc, v4, v10, vcc
	v_mad_u64_u32 v[10:11], s[0:1], v5, v4, 0
	v_mul_hi_u32 v7, v5, v2
	v_mad_u64_u32 v[12:13], s[0:1], v6, v4, 0
	v_add_co_u32_e32 v7, vcc, v7, v10
	v_addc_co_u32_e32 v14, vcc, 0, v11, vcc
	v_mad_u64_u32 v[10:11], s[0:1], v6, v2, 0
	v_add_co_u32_e32 v2, vcc, v7, v10
	v_addc_co_u32_e32 v2, vcc, v14, v11, vcc
	v_addc_co_u32_e32 v4, vcc, 0, v13, vcc
	v_add_co_u32_e32 v2, vcc, v2, v12
	v_addc_co_u32_e32 v4, vcc, 0, v4, vcc
	v_mul_lo_u32 v7, s25, v2
	v_mul_lo_u32 v12, s24, v4
	v_mad_u64_u32 v[10:11], s[0:1], s24, v2, 0
	v_add3_u32 v7, v11, v12, v7
	v_sub_u32_e32 v11, v6, v7
	v_mov_b32_e32 v12, s25
	v_sub_co_u32_e32 v10, vcc, v5, v10
	v_subb_co_u32_e64 v11, s[0:1], v11, v12, vcc
	v_subrev_co_u32_e64 v12, s[0:1], s24, v10
	v_subbrev_co_u32_e64 v11, s[0:1], 0, v11, s[0:1]
	v_cmp_le_u32_e64 s[0:1], s25, v11
	v_cndmask_b32_e64 v13, 0, -1, s[0:1]
	v_cmp_le_u32_e64 s[0:1], s24, v12
	v_cndmask_b32_e64 v12, 0, -1, s[0:1]
	v_cmp_eq_u32_e64 s[0:1], s25, v11
	v_cndmask_b32_e64 v11, v13, v12, s[0:1]
	v_add_co_u32_e64 v12, s[0:1], 2, v2
	v_addc_co_u32_e64 v13, s[0:1], 0, v4, s[0:1]
	v_add_co_u32_e64 v14, s[0:1], 1, v2
	v_addc_co_u32_e64 v15, s[0:1], 0, v4, s[0:1]
	v_subb_co_u32_e32 v7, vcc, v6, v7, vcc
	v_cmp_ne_u32_e64 s[0:1], 0, v11
	v_cmp_le_u32_e32 vcc, s25, v7
	v_cndmask_b32_e64 v11, v15, v13, s[0:1]
	v_cndmask_b32_e64 v13, 0, -1, vcc
	v_cmp_le_u32_e32 vcc, s24, v10
	v_cndmask_b32_e64 v10, 0, -1, vcc
	v_cmp_eq_u32_e32 vcc, s25, v7
	v_cndmask_b32_e32 v7, v13, v10, vcc
	v_cmp_ne_u32_e32 vcc, 0, v7
	v_cndmask_b32_e32 v13, v4, v11, vcc
	v_cndmask_b32_e64 v4, v14, v12, s[0:1]
	v_cndmask_b32_e32 v12, v2, v4, vcc
.LBB0_4:                                ;   in Loop: Header=BB0_2 Depth=1
	s_andn2_saveexec_b64 s[0:1], s[26:27]
	s_cbranch_execz .LBB0_6
; %bb.5:                                ;   in Loop: Header=BB0_2 Depth=1
	v_cvt_f32_u32_e32 v2, s24
	s_sub_i32 s26, 0, s24
	v_mov_b32_e32 v13, v3
	v_rcp_iflag_f32_e32 v2, v2
	v_mul_f32_e32 v2, 0x4f7ffffe, v2
	v_cvt_u32_f32_e32 v2, v2
	v_mul_lo_u32 v4, s26, v2
	v_mul_hi_u32 v4, v2, v4
	v_add_u32_e32 v2, v2, v4
	v_mul_hi_u32 v2, v5, v2
	v_mul_lo_u32 v4, v2, s24
	v_add_u32_e32 v7, 1, v2
	v_sub_u32_e32 v4, v5, v4
	v_subrev_u32_e32 v10, s24, v4
	v_cmp_le_u32_e32 vcc, s24, v4
	v_cndmask_b32_e32 v4, v4, v10, vcc
	v_cndmask_b32_e32 v2, v2, v7, vcc
	v_add_u32_e32 v7, 1, v2
	v_cmp_le_u32_e32 vcc, s24, v4
	v_cndmask_b32_e32 v12, v2, v7, vcc
.LBB0_6:                                ;   in Loop: Header=BB0_2 Depth=1
	s_or_b64 exec, exec, s[0:1]
	v_mul_lo_u32 v2, v13, s24
	v_mul_lo_u32 v4, v12, s25
	v_mad_u64_u32 v[10:11], s[0:1], v12, s24, 0
	s_load_dwordx2 s[0:1], s[6:7], 0x0
	s_load_dwordx2 s[24:25], s[2:3], 0x0
	v_add3_u32 v2, v11, v4, v2
	v_sub_co_u32_e32 v4, vcc, v5, v10
	v_subb_co_u32_e32 v2, vcc, v6, v2, vcc
	s_waitcnt lgkmcnt(0)
	v_mul_lo_u32 v5, s0, v2
	v_mul_lo_u32 v6, s1, v4
	v_mad_u64_u32 v[18:19], s[0:1], s0, v4, v[18:19]
	s_add_u32 s22, s22, 1
	s_addc_u32 s23, s23, 0
	s_add_u32 s2, s2, 8
	v_mul_lo_u32 v2, s24, v2
	v_mul_lo_u32 v7, s25, v4
	v_mad_u64_u32 v[8:9], s[0:1], s24, v4, v[8:9]
	v_add3_u32 v19, v6, v19, v5
	s_addc_u32 s3, s3, 0
	v_mov_b32_e32 v4, s14
	s_add_u32 s6, s6, 8
	v_mov_b32_e32 v5, s15
	s_addc_u32 s7, s7, 0
	v_cmp_ge_u64_e32 vcc, s[22:23], v[4:5]
	s_add_u32 s20, s20, 8
	v_add3_u32 v9, v7, v9, v2
	s_addc_u32 s21, s21, 0
	s_cbranch_vccnz .LBB0_8
; %bb.7:                                ;   in Loop: Header=BB0_2 Depth=1
	v_mov_b32_e32 v5, v12
	v_mov_b32_e32 v6, v13
	s_branch .LBB0_2
.LBB0_8:
	s_mov_b32 s0, 0xcccccccd
	s_load_dwordx2 s[4:5], s[4:5], 0x28
	v_mul_hi_u32 v2, v1, s0
	s_lshl_b64 s[6:7], s[14:15], 3
	s_add_u32 s2, s18, s6
	s_addc_u32 s3, s19, s7
	v_lshrrev_b32_e32 v2, 2, v2
	v_lshl_add_u32 v2, v2, 2, v2
	s_waitcnt lgkmcnt(0)
	v_cmp_gt_u64_e64 s[0:1], s[4:5], v[12:13]
	v_cmp_le_u64_e32 vcc, s[4:5], v[12:13]
	v_sub_u32_e32 v7, v1, v2
                                        ; implicit-def: $vgpr10
                                        ; implicit-def: $vgpr14
                                        ; implicit-def: $vgpr16
                                        ; implicit-def: $vgpr3
                                        ; implicit-def: $vgpr5
                                        ; implicit-def: $vgpr1
	s_and_saveexec_b64 s[4:5], vcc
	s_xor_b64 s[4:5], exec, s[4:5]
	s_cbranch_execz .LBB0_10
; %bb.9:
	s_mov_b32 s14, 0xaaaaaab
	v_mul_hi_u32 v1, v0, s14
	v_mov_b32_e32 v11, 0
	v_mov_b32_e32 v15, v11
	;; [unrolled: 1-line block ×3, first 2 shown]
	v_mul_u32_u24_e32 v1, 24, v1
	v_sub_u32_e32 v10, v0, v1
	v_add_u32_e32 v14, 24, v10
	v_add_u32_e32 v16, 48, v10
	v_or_b32_e32 v3, 0x60, v10
	v_add_u32_e32 v5, 0x48, v10
	v_add_u32_e32 v1, 0x78, v10
	v_mov_b32_e32 v6, v11
	v_mov_b32_e32 v4, v11
	;; [unrolled: 1-line block ×3, first 2 shown]
                                        ; implicit-def: $vgpr0
                                        ; implicit-def: $vgpr18_vgpr19
.LBB0_10:
	s_or_saveexec_b64 s[4:5], s[4:5]
	v_mul_u32_u24_e32 v7, 0x121, v7
	v_lshlrev_b32_e32 v20, 4, v7
	s_xor_b64 exec, exec, s[4:5]
	s_cbranch_execz .LBB0_12
; %bb.11:
	s_add_u32 s6, s16, s6
	s_addc_u32 s7, s17, s7
	s_load_dwordx2 s[6:7], s[6:7], 0x0
	s_mov_b32 s14, 0xaaaaaab
	v_mul_hi_u32 v3, v0, s14
	v_mov_b32_e32 v11, 0
	v_mov_b32_e32 v15, v11
	s_waitcnt lgkmcnt(0)
	v_mul_lo_u32 v4, s7, v12
	v_mul_lo_u32 v5, s6, v13
	v_mad_u64_u32 v[1:2], s[6:7], s6, v12, 0
	v_mul_u32_u24_e32 v3, 24, v3
	v_sub_u32_e32 v10, v0, v3
	v_add3_u32 v2, v2, v5, v4
	v_lshlrev_b64 v[0:1], 4, v[1:2]
	v_mov_b32_e32 v2, s9
	v_add_co_u32_e32 v3, vcc, s8, v0
	v_addc_co_u32_e32 v2, vcc, v2, v1, vcc
	v_lshlrev_b64 v[0:1], 4, v[18:19]
	v_lshlrev_b32_e32 v7, 4, v10
	v_add_co_u32_e32 v0, vcc, v3, v0
	v_addc_co_u32_e32 v1, vcc, v2, v1, vcc
	v_add_co_u32_e32 v0, vcc, v0, v7
	v_addc_co_u32_e32 v1, vcc, 0, v1, vcc
	v_add_co_u32_e32 v2, vcc, 0x1000, v0
	global_load_dwordx4 v[21:24], v[0:1], off
	global_load_dwordx4 v[25:28], v[0:1], off offset:384
	global_load_dwordx4 v[29:32], v[0:1], off offset:768
	global_load_dwordx4 v[33:36], v[0:1], off offset:1152
	global_load_dwordx4 v[37:40], v[0:1], off offset:1536
	global_load_dwordx4 v[41:44], v[0:1], off offset:1920
	global_load_dwordx4 v[45:48], v[0:1], off offset:2304
	global_load_dwordx4 v[49:52], v[0:1], off offset:2688
	global_load_dwordx4 v[53:56], v[0:1], off offset:3072
	global_load_dwordx4 v[57:60], v[0:1], off offset:3456
	v_addc_co_u32_e32 v3, vcc, 0, v1, vcc
	global_load_dwordx4 v[61:64], v[0:1], off offset:3840
	global_load_dwordx4 v[65:68], v[2:3], off offset:128
	v_mov_b32_e32 v17, v11
	v_mov_b32_e32 v6, v11
	;; [unrolled: 1-line block ×4, first 2 shown]
	v_add_u32_e32 v14, 24, v10
	v_add_u32_e32 v16, 48, v10
	;; [unrolled: 1-line block ×3, first 2 shown]
	v_or_b32_e32 v3, 0x60, v10
	v_add_u32_e32 v1, 0x78, v10
	v_add3_u32 v0, 0, v20, v7
	s_waitcnt vmcnt(11)
	ds_write_b128 v0, v[21:24]
	s_waitcnt vmcnt(10)
	ds_write_b128 v0, v[25:28] offset:384
	s_waitcnt vmcnt(9)
	ds_write_b128 v0, v[29:32] offset:768
	;; [unrolled: 2-line block ×11, first 2 shown]
.LBB0_12:
	s_or_b64 exec, exec, s[4:5]
	v_lshlrev_b32_e32 v0, 4, v10
	v_add_u32_e32 v31, 0, v20
	v_add3_u32 v7, 0, v0, v20
	s_load_dwordx2 s[2:3], s[2:3], 0x0
	s_waitcnt lgkmcnt(0)
	s_barrier
	v_add_u32_e32 v32, v31, v0
	ds_read_b128 v[21:24], v7 offset:1536
	ds_read_b128 v[25:28], v32
	ds_read_b128 v[33:36], v7 offset:2304
	ds_read_b128 v[37:40], v7 offset:3840
	;; [unrolled: 1-line block ×8, first 2 shown]
	s_waitcnt lgkmcnt(6)
	v_add_f64 v[29:30], v[35:36], v[39:40]
	v_add_f64 v[69:70], v[33:34], v[37:38]
	v_add_f64 v[77:78], v[33:34], -v[37:38]
	s_mov_b32 s4, 0xe8584caa
	v_add_f64 v[75:76], v[35:36], -v[39:40]
	s_mov_b32 s5, 0x3febb67a
	s_mov_b32 s7, 0xbfebb67a
	;; [unrolled: 1-line block ×3, first 2 shown]
	s_waitcnt lgkmcnt(0)
	v_fma_f64 v[29:30], v[29:30], -0.5, v[63:64]
	v_fma_f64 v[79:80], v[69:70], -0.5, v[61:62]
	v_add_f64 v[18:19], v[25:26], v[21:22]
	v_add_f64 v[73:74], v[27:28], v[23:24]
	;; [unrolled: 1-line block ×3, first 2 shown]
	v_add_f64 v[83:84], v[23:24], -v[59:60]
	v_add_f64 v[23:24], v[23:24], v[59:60]
	v_add_f64 v[21:22], v[21:22], -v[57:58]
	v_fma_f64 v[85:86], v[77:78], s[6:7], v[29:30]
	v_fma_f64 v[87:88], v[75:76], s[4:5], v[79:80]
	v_add_f64 v[18:19], v[18:19], v[57:58]
	v_add_f64 v[57:58], v[73:74], v[59:60]
	;; [unrolled: 1-line block ×4, first 2 shown]
	v_fma_f64 v[63:64], v[75:76], s[6:7], v[79:80]
	v_fma_f64 v[29:30], v[77:78], s[4:5], v[29:30]
	v_mul_f64 v[59:60], v[85:86], s[4:5]
	v_mul_f64 v[61:62], v[87:88], s[6:7]
	v_fma_f64 v[25:26], v[81:82], -0.5, v[25:26]
	v_fma_f64 v[23:24], v[23:24], -0.5, v[27:28]
	v_add_f64 v[27:28], v[33:34], v[37:38]
	v_add_f64 v[33:34], v[35:36], v[39:40]
	v_mul_f64 v[35:36], v[63:64], -0.5
	s_movk_i32 s8, 0x50
	v_fma_f64 v[37:38], v[87:88], 0.5, v[59:60]
	v_mul_f64 v[59:60], v[29:30], -0.5
	v_fma_f64 v[39:40], v[85:86], 0.5, v[61:62]
	v_fma_f64 v[61:62], v[83:84], s[4:5], v[25:26]
	v_fma_f64 v[73:74], v[21:22], s[6:7], v[23:24]
	;; [unrolled: 1-line block ×5, first 2 shown]
	v_add_f64 v[21:22], v[18:19], v[27:28]
	v_fma_f64 v[63:64], v[63:64], s[6:7], v[59:60]
	v_add_f64 v[23:24], v[57:58], v[33:34]
	v_add_f64 v[25:26], v[18:19], -v[27:28]
	v_add_f64 v[27:28], v[57:58], -v[33:34]
	v_add_f64 v[33:34], v[61:62], v[37:38]
	v_add_f64 v[35:36], v[73:74], v[39:40]
	;; [unrolled: 1-line block ×3, first 2 shown]
	v_add_f64 v[37:38], v[61:62], -v[37:38]
	v_add_f64 v[59:60], v[77:78], v[63:64]
	v_add_f64 v[61:62], v[75:76], -v[29:30]
	v_mad_u32_u24 v29, v10, s8, v7
	ds_read_b128 v[65:68], v7 offset:1152
	ds_read_b128 v[69:72], v7 offset:3456
	s_waitcnt lgkmcnt(0)
	s_barrier
	ds_write_b128 v29, v[21:24]
	ds_write_b128 v29, v[33:36] offset:16
	ds_write_b128 v29, v[57:60] offset:32
	v_add_f64 v[18:19], v[51:52], v[55:56]
	v_add_f64 v[21:22], v[49:50], v[53:54]
	v_add_f64 v[39:40], v[73:74], -v[39:40]
	v_add_f64 v[63:64], v[77:78], -v[63:64]
	ds_write_b128 v29, v[25:28] offset:48
	ds_write_b128 v29, v[37:40] offset:64
	;; [unrolled: 1-line block ×3, first 2 shown]
	v_add_f64 v[25:26], v[51:52], -v[55:56]
	v_add_f64 v[27:28], v[49:50], -v[53:54]
	v_fma_f64 v[18:19], v[18:19], -0.5, v[67:68]
	v_fma_f64 v[21:22], v[21:22], -0.5, v[65:66]
	v_add_f64 v[23:24], v[41:42], v[45:46]
	v_add_f64 v[29:30], v[43:44], v[47:48]
	;; [unrolled: 1-line block ×3, first 2 shown]
	v_add_f64 v[35:36], v[47:48], -v[71:72]
	v_add_f64 v[37:38], v[65:66], v[49:50]
	v_add_f64 v[39:40], v[47:48], v[71:72]
	v_fma_f64 v[47:48], v[27:28], s[6:7], v[18:19]
	v_fma_f64 v[49:50], v[25:26], s[4:5], v[21:22]
	v_add_f64 v[57:58], v[23:24], v[69:70]
	v_add_f64 v[23:24], v[67:68], v[51:52]
	v_fma_f64 v[25:26], v[25:26], s[6:7], v[21:22]
	v_fma_f64 v[18:19], v[27:28], s[4:5], v[18:19]
	v_add_f64 v[45:46], v[45:46], -v[69:70]
	v_fma_f64 v[33:34], v[33:34], -0.5, v[41:42]
	v_mul_f64 v[27:28], v[47:48], s[4:5]
	v_mul_f64 v[51:52], v[49:50], s[6:7]
	v_fma_f64 v[39:40], v[39:40], -0.5, v[43:44]
	v_add_f64 v[41:42], v[23:24], v[55:56]
	v_mul_f64 v[23:24], v[25:26], -0.5
	v_mul_f64 v[43:44], v[18:19], -0.5
	v_add_f64 v[29:30], v[29:30], v[71:72]
	v_add_f64 v[37:38], v[37:38], v[53:54]
	v_fma_f64 v[49:50], v[49:50], 0.5, v[27:28]
	v_fma_f64 v[47:48], v[47:48], 0.5, v[51:52]
	v_fma_f64 v[51:52], v[35:36], s[4:5], v[33:34]
	v_fma_f64 v[53:54], v[45:46], s[6:7], v[39:40]
	;; [unrolled: 1-line block ×6, first 2 shown]
	v_add_f64 v[21:22], v[57:58], v[37:38]
	v_add_f64 v[23:24], v[29:30], v[41:42]
	;; [unrolled: 1-line block ×4, first 2 shown]
	v_add_f64 v[27:28], v[29:30], -v[41:42]
	v_add_f64 v[25:26], v[57:58], -v[37:38]
	v_add_f64 v[41:42], v[55:56], v[18:19]
	v_add_f64 v[43:44], v[59:60], v[61:62]
	v_add_f64 v[37:38], v[51:52], -v[49:50]
	v_add_f64 v[39:40], v[53:54], -v[47:48]
	;; [unrolled: 1-line block ×4, first 2 shown]
	v_mul_i32_i24_e32 v18, 6, v14
	s_movk_i32 s8, 0xab
	v_lshl_add_u32 v30, v18, 4, v31
	v_mul_lo_u16_sdwa v18, v10, s8 dst_sel:DWORD dst_unused:UNUSED_PAD src0_sel:BYTE_0 src1_sel:DWORD
	ds_write_b128 v30, v[21:24]
	ds_write_b128 v30, v[33:36] offset:16
	ds_write_b128 v30, v[41:44] offset:32
	;; [unrolled: 1-line block ×5, first 2 shown]
	v_lshrrev_b16_e32 v21, 10, v18
	v_mul_lo_u16_e32 v18, 6, v21
	v_sub_u16_e32 v22, v10, v18
	v_mov_b32_e32 v27, 5
	v_mul_u32_u24_sdwa v18, v22, v27 dst_sel:DWORD dst_unused:UNUSED_PAD src0_sel:BYTE_0 src1_sel:DWORD
	v_lshlrev_b32_e32 v19, 4, v18
	s_waitcnt lgkmcnt(0)
	s_barrier
	global_load_dwordx4 v[23:26], v19, s[12:13]
	global_load_dwordx4 v[35:38], v19, s[12:13] offset:16
	global_load_dwordx4 v[39:42], v19, s[12:13] offset:32
	;; [unrolled: 1-line block ×3, first 2 shown]
	v_mul_lo_u16_sdwa v18, v14, s8 dst_sel:DWORD dst_unused:UNUSED_PAD src0_sel:BYTE_0 src1_sel:DWORD
	v_lshrrev_b16_e32 v18, 10, v18
	v_mul_lo_u16_e32 v28, 6, v18
	global_load_dwordx4 v[47:50], v19, s[12:13] offset:64
	v_sub_u16_e32 v19, v14, v28
	v_mul_u32_u24_sdwa v27, v19, v27 dst_sel:DWORD dst_unused:UNUSED_PAD src0_sel:BYTE_0 src1_sel:DWORD
	v_lshlrev_b32_e32 v27, 4, v27
	global_load_dwordx4 v[51:54], v27, s[12:13]
	global_load_dwordx4 v[55:58], v27, s[12:13] offset:16
	global_load_dwordx4 v[59:62], v27, s[12:13] offset:32
	global_load_dwordx4 v[63:66], v27, s[12:13] offset:48
	global_load_dwordx4 v[67:70], v27, s[12:13] offset:64
	v_lshl_add_u32 v34, v16, 4, v31
	v_lshl_add_u32 v33, v3, 4, v31
	ds_read_b128 v[71:74], v34
	ds_read_b128 v[75:78], v7 offset:4224
	ds_read_b128 v[79:82], v33
	ds_read_b128 v[83:86], v7 offset:2304
	s_movk_i32 s8, 0xffb0
	v_mad_i32_i24 v27, v14, s8, v30
	ds_read_b128 v[87:90], v27
	ds_read_b128 v[91:94], v32
	s_movk_i32 s8, 0x240
	v_mov_b32_e32 v30, 4
	v_mad_u32_u24 v21, v21, s8, 0
	v_lshlrev_b32_sdwa v22, v30, v22 dst_sel:DWORD dst_unused:UNUSED_PAD src0_sel:DWORD src1_sel:BYTE_0
	v_lshlrev_b32_sdwa v19, v30, v19 dst_sel:DWORD dst_unused:UNUSED_PAD src0_sel:DWORD src1_sel:BYTE_0
	v_mad_u32_u24 v18, v18, s8, 0
	v_add3_u32 v18, v18, v19, v20
	v_cmp_gt_u32_e32 vcc, 12, v10
	v_mov_b32_e32 v19, 0
	s_waitcnt vmcnt(9) lgkmcnt(5)
	v_mul_f64 v[28:29], v[73:74], v[25:26]
	v_mul_f64 v[25:26], v[71:72], v[25:26]
	s_waitcnt vmcnt(8) lgkmcnt(3)
	v_mul_f64 v[95:96], v[81:82], v[37:38]
	v_mul_f64 v[37:38], v[79:80], v[37:38]
	;; [unrolled: 3-line block ×3, first 2 shown]
	v_fma_f64 v[28:29], v[71:72], v[23:24], -v[28:29]
	v_fma_f64 v[99:100], v[73:74], v[23:24], v[25:26]
	ds_read_b128 v[71:74], v7 offset:3840
	v_fma_f64 v[101:102], v[79:80], v[35:36], -v[95:96]
	ds_read_b128 v[23:26], v7 offset:3072
	v_fma_f64 v[103:104], v[81:82], v[35:36], v[37:38]
	v_fma_f64 v[105:106], v[83:84], v[39:40], -v[97:98]
	v_fma_f64 v[41:42], v[85:86], v[39:40], v[41:42]
	ds_read_b128 v[37:40], v7 offset:2688
	v_lshl_add_u32 v36, v5, 4, v31
	ds_read_b128 v[79:82], v7 offset:3456
	ds_read_b128 v[83:86], v36
	s_waitcnt vmcnt(6) lgkmcnt(3)
	v_mul_f64 v[107:108], v[25:26], v[45:46]
	v_mul_f64 v[45:46], v[23:24], v[45:46]
	s_waitcnt vmcnt(5)
	v_mul_f64 v[109:110], v[73:74], v[49:50]
	v_mul_f64 v[49:50], v[71:72], v[49:50]
	s_waitcnt vmcnt(4) lgkmcnt(0)
	v_mul_f64 v[111:112], v[85:86], v[53:54]
	v_mul_f64 v[53:54], v[83:84], v[53:54]
	v_lshl_add_u32 v35, v1, 4, v31
	ds_read_b128 v[95:98], v35
	v_fma_f64 v[23:24], v[23:24], v[43:44], -v[107:108]
	v_fma_f64 v[25:26], v[25:26], v[43:44], v[45:46]
	v_fma_f64 v[45:46], v[71:72], v[47:48], -v[109:110]
	v_fma_f64 v[47:48], v[73:74], v[47:48], v[49:50]
	s_waitcnt vmcnt(3) lgkmcnt(0)
	v_mul_f64 v[43:44], v[97:98], v[57:58]
	v_mul_f64 v[57:58], v[95:96], v[57:58]
	v_fma_f64 v[71:72], v[83:84], v[51:52], -v[111:112]
	v_fma_f64 v[73:74], v[85:86], v[51:52], v[53:54]
	s_waitcnt vmcnt(2)
	v_mul_f64 v[49:50], v[39:40], v[61:62]
	v_mul_f64 v[51:52], v[37:38], v[61:62]
	s_waitcnt vmcnt(1)
	v_mul_f64 v[53:54], v[79:80], v[65:66]
	v_fma_f64 v[61:62], v[95:96], v[55:56], -v[43:44]
	v_mul_f64 v[43:44], v[81:82], v[65:66]
	v_fma_f64 v[57:58], v[97:98], v[55:56], v[57:58]
	s_waitcnt vmcnt(0)
	v_mul_f64 v[55:56], v[77:78], v[69:70]
	v_mul_f64 v[65:66], v[75:76], v[69:70]
	v_fma_f64 v[69:70], v[37:38], v[59:60], -v[49:50]
	v_fma_f64 v[59:60], v[39:40], v[59:60], v[51:52]
	v_add_f64 v[37:38], v[41:42], v[47:48]
	v_add_f64 v[39:40], v[105:106], v[45:46]
	v_fma_f64 v[79:80], v[79:80], v[63:64], -v[43:44]
	v_fma_f64 v[63:64], v[81:82], v[63:64], v[53:54]
	v_add_f64 v[51:52], v[105:106], -v[45:46]
	v_add_f64 v[53:54], v[41:42], -v[47:48]
	v_fma_f64 v[65:66], v[77:78], v[67:68], v[65:66]
	v_add_f64 v[43:44], v[101:102], v[23:24]
	v_fma_f64 v[37:38], v[37:38], -0.5, v[99:100]
	v_fma_f64 v[39:40], v[39:40], -0.5, v[28:29]
	v_add_f64 v[49:50], v[103:104], v[25:26]
	v_add_f64 v[28:29], v[28:29], v[105:106]
	;; [unrolled: 1-line block ×3, first 2 shown]
	v_fma_f64 v[75:76], v[75:76], v[67:68], -v[55:56]
	v_add_f64 v[55:56], v[91:92], v[101:102]
	v_add_f64 v[67:68], v[93:94], v[103:104]
	v_fma_f64 v[77:78], v[51:52], s[6:7], v[37:38]
	v_fma_f64 v[81:82], v[53:54], s[4:5], v[39:40]
	;; [unrolled: 1-line block ×4, first 2 shown]
	v_fma_f64 v[43:44], v[43:44], -0.5, v[91:92]
	v_fma_f64 v[49:50], v[49:50], -0.5, v[93:94]
	v_add_f64 v[28:29], v[28:29], v[45:46]
	v_add_f64 v[41:42], v[41:42], v[47:48]
	v_mul_f64 v[45:46], v[77:78], s[4:5]
	v_mul_f64 v[47:48], v[81:82], s[6:7]
	v_add_f64 v[51:52], v[103:104], -v[25:26]
	v_add_f64 v[53:54], v[101:102], -v[23:24]
	v_add_f64 v[55:56], v[55:56], v[23:24]
	v_add_f64 v[67:68], v[67:68], v[25:26]
	v_mul_f64 v[83:84], v[39:40], -0.5
	v_mul_f64 v[85:86], v[37:38], -0.5
	v_fma_f64 v[45:46], v[81:82], 0.5, v[45:46]
	v_fma_f64 v[47:48], v[77:78], 0.5, v[47:48]
	v_fma_f64 v[77:78], v[51:52], s[4:5], v[43:44]
	v_fma_f64 v[81:82], v[53:54], s[6:7], v[49:50]
	v_add_f64 v[23:24], v[55:56], v[28:29]
	v_add_f64 v[25:26], v[67:68], v[41:42]
	v_fma_f64 v[91:92], v[51:52], s[6:7], v[43:44]
	v_fma_f64 v[93:94], v[53:54], s[4:5], v[49:50]
	;; [unrolled: 1-line block ×4, first 2 shown]
	v_add_f64 v[39:40], v[67:68], -v[41:42]
	v_add_f64 v[41:42], v[77:78], v[45:46]
	v_add_f64 v[43:44], v[81:82], v[47:48]
	v_add_f64 v[37:38], v[55:56], -v[28:29]
	v_add3_u32 v28, v21, v22, v20
	s_barrier
	v_add_f64 v[49:50], v[91:92], v[53:54]
	v_add_f64 v[51:52], v[93:94], v[83:84]
	ds_write_b128 v28, v[23:26]
	ds_write_b128 v28, v[41:44] offset:96
	v_add_f64 v[21:22], v[59:60], v[65:66]
	v_add_f64 v[23:24], v[69:70], v[75:76]
	v_add_f64 v[45:46], v[77:78], -v[45:46]
	v_add_f64 v[47:48], v[81:82], -v[47:48]
	;; [unrolled: 1-line block ×4, first 2 shown]
	ds_write_b128 v28, v[49:52] offset:192
	ds_write_b128 v28, v[37:40] offset:288
	;; [unrolled: 1-line block ×4, first 2 shown]
	v_fma_f64 v[21:22], v[21:22], -0.5, v[73:74]
	v_add_f64 v[37:38], v[69:70], -v[75:76]
	v_fma_f64 v[23:24], v[23:24], -0.5, v[71:72]
	v_add_f64 v[39:40], v[59:60], -v[65:66]
	v_add_f64 v[25:26], v[61:62], v[79:80]
	v_add_f64 v[28:29], v[57:58], v[63:64]
	;; [unrolled: 1-line block ×5, first 2 shown]
	v_fma_f64 v[49:50], v[37:38], s[6:7], v[21:22]
	v_fma_f64 v[37:38], v[37:38], s[4:5], v[21:22]
	v_fma_f64 v[51:52], v[39:40], s[4:5], v[23:24]
	v_fma_f64 v[39:40], v[39:40], s[6:7], v[23:24]
	v_add_f64 v[47:48], v[73:74], v[59:60]
	v_fma_f64 v[25:26], v[25:26], -0.5, v[87:88]
	v_fma_f64 v[28:29], v[28:29], -0.5, v[89:90]
	v_add_f64 v[57:58], v[57:58], -v[63:64]
	v_mul_f64 v[53:54], v[49:50], s[4:5]
	v_add_f64 v[59:60], v[61:62], -v[79:80]
	v_mul_f64 v[55:56], v[51:52], s[6:7]
	v_add_f64 v[43:44], v[43:44], v[63:64]
	v_mul_f64 v[61:62], v[39:40], -0.5
	v_mul_f64 v[63:64], v[37:38], -0.5
	v_add_f64 v[41:42], v[41:42], v[79:80]
	v_add_f64 v[45:46], v[45:46], v[75:76]
	;; [unrolled: 1-line block ×3, first 2 shown]
	v_fma_f64 v[51:52], v[51:52], 0.5, v[53:54]
	v_fma_f64 v[49:50], v[49:50], 0.5, v[55:56]
	v_fma_f64 v[53:54], v[57:58], s[4:5], v[25:26]
	v_fma_f64 v[55:56], v[59:60], s[6:7], v[28:29]
	;; [unrolled: 1-line block ×6, first 2 shown]
	v_add_f64 v[21:22], v[41:42], v[45:46]
	v_add_f64 v[23:24], v[43:44], v[47:48]
	v_add_f64 v[37:38], v[41:42], -v[45:46]
	v_add_f64 v[39:40], v[43:44], -v[47:48]
	v_add_f64 v[41:42], v[53:54], v[51:52]
	v_add_f64 v[43:44], v[55:56], v[49:50]
	v_add_f64 v[45:46], v[53:54], -v[51:52]
	v_add_f64 v[47:48], v[55:56], -v[49:50]
	;; [unrolled: 4-line block ×3, first 2 shown]
	ds_write_b128 v18, v[21:24]
	ds_write_b128 v18, v[41:44] offset:96
	ds_write_b128 v18, v[49:52] offset:192
	;; [unrolled: 1-line block ×5, first 2 shown]
	v_mul_u32_u24_e32 v18, 3, v10
	v_lshlrev_b32_e32 v25, 4, v18
	s_waitcnt lgkmcnt(0)
	s_barrier
	global_load_dwordx4 v[21:24], v25, s[12:13] offset:480
	global_load_dwordx4 v[37:40], v25, s[12:13] offset:496
	;; [unrolled: 1-line block ×3, first 2 shown]
	v_add_u32_e32 v18, -12, v10
	v_cndmask_b32_e32 v101, v18, v14, vcc
	v_mul_i32_i24_e32 v18, 3, v101
	v_lshlrev_b64 v[18:19], 4, v[18:19]
	v_mov_b32_e32 v28, s13
	v_add_co_u32_e32 v18, vcc, s12, v18
	v_addc_co_u32_e32 v19, vcc, v28, v19, vcc
	global_load_dwordx4 v[45:48], v[18:19], off offset:480
	global_load_dwordx4 v[49:52], v[18:19], off offset:496
	;; [unrolled: 1-line block ×3, first 2 shown]
	global_load_dwordx4 v[57:60], v25, s[12:13] offset:1056
	global_load_dwordx4 v[61:64], v25, s[12:13] offset:1072
	;; [unrolled: 1-line block ×3, first 2 shown]
	ds_read_b128 v[69:72], v36
	ds_read_b128 v[73:76], v7 offset:2304
	ds_read_b128 v[77:80], v35
	v_cmp_lt_u32_e32 vcc, 11, v10
	s_add_u32 s6, s12, 0x11a0
	s_addc_u32 s7, s13, 0
	s_waitcnt vmcnt(8) lgkmcnt(2)
	v_mul_f64 v[18:19], v[71:72], v[23:24]
	v_mul_f64 v[29:30], v[69:70], v[23:24]
	ds_read_b128 v[23:26], v32
	s_waitcnt vmcnt(7) lgkmcnt(2)
	v_mul_f64 v[81:82], v[75:76], v[39:40]
	v_mul_f64 v[39:40], v[73:74], v[39:40]
	v_fma_f64 v[18:19], v[69:70], v[21:22], -v[18:19]
	v_fma_f64 v[29:30], v[71:72], v[21:22], v[29:30]
	ds_read_b128 v[69:72], v7 offset:3456
	v_fma_f64 v[21:22], v[73:74], v[37:38], -v[81:82]
	v_fma_f64 v[93:94], v[75:76], v[37:38], v[39:40]
	ds_read_b128 v[37:40], v7 offset:3840
	ds_read_b128 v[73:76], v33
	ds_read_b128 v[81:84], v7 offset:2688
	ds_read_b128 v[85:88], v27
	s_waitcnt vmcnt(6) lgkmcnt(4)
	v_mul_f64 v[95:96], v[71:72], v[43:44]
	v_mul_f64 v[43:44], v[69:70], v[43:44]
	ds_read_b128 v[89:92], v7 offset:3072
	s_waitcnt vmcnt(5) lgkmcnt(3)
	v_mul_f64 v[97:98], v[75:76], v[47:48]
	v_mul_f64 v[47:48], v[73:74], v[47:48]
	s_waitcnt vmcnt(4) lgkmcnt(2)
	v_mul_f64 v[99:100], v[83:84], v[51:52]
	v_mul_f64 v[51:52], v[81:82], v[51:52]
	v_fma_f64 v[69:70], v[69:70], v[41:42], -v[95:96]
	v_fma_f64 v[41:42], v[71:72], v[41:42], v[43:44]
	s_waitcnt vmcnt(3)
	v_mul_f64 v[95:96], v[39:40], v[55:56]
	v_mul_f64 v[55:56], v[37:38], v[55:56]
	v_fma_f64 v[71:72], v[73:74], v[45:46], -v[97:98]
	v_fma_f64 v[73:74], v[75:76], v[45:46], v[47:48]
	s_waitcnt vmcnt(2)
	v_mul_f64 v[43:44], v[79:80], v[59:60]
	v_mul_f64 v[45:46], v[77:78], v[59:60]
	v_add_f64 v[59:60], v[25:26], -v[93:94]
	v_add_f64 v[47:48], v[18:19], -v[69:70]
	;; [unrolled: 1-line block ×3, first 2 shown]
	v_fma_f64 v[75:76], v[81:82], v[49:50], -v[99:100]
	v_fma_f64 v[49:50], v[83:84], v[49:50], v[51:52]
	v_fma_f64 v[51:52], v[37:38], v[53:54], -v[95:96]
	v_fma_f64 v[53:54], v[39:40], v[53:54], v[55:56]
	ds_read_b128 v[37:40], v34
	v_add_f64 v[55:56], v[23:24], -v[21:22]
	v_fma_f64 v[77:78], v[77:78], v[57:58], -v[43:44]
	s_waitcnt vmcnt(1) lgkmcnt(1)
	v_mul_f64 v[41:42], v[91:92], v[63:64]
	v_mul_f64 v[43:44], v[89:90], v[63:64]
	v_fma_f64 v[25:26], v[25:26], 2.0, -v[59:60]
	v_fma_f64 v[29:30], v[29:30], 2.0, -v[69:70]
	;; [unrolled: 1-line block ×3, first 2 shown]
	v_fma_f64 v[57:58], v[79:80], v[57:58], v[45:46]
	v_fma_f64 v[63:64], v[23:24], 2.0, -v[55:56]
	ds_read_b128 v[21:24], v7 offset:4224
	v_fma_f64 v[79:80], v[89:90], v[61:62], -v[41:42]
	v_fma_f64 v[61:62], v[91:92], v[61:62], v[43:44]
	v_add_f64 v[45:46], v[55:56], -v[69:70]
	v_add_f64 v[43:44], v[25:26], -v[29:30]
	s_waitcnt vmcnt(0) lgkmcnt(0)
	v_mul_f64 v[81:82], v[23:24], v[67:68]
	v_mul_f64 v[67:68], v[21:22], v[67:68]
	v_add_f64 v[41:42], v[63:64], -v[18:19]
	v_add_f64 v[47:48], v[59:60], v[47:48]
	v_add_f64 v[53:54], v[73:74], -v[53:54]
	s_barrier
	v_fma_f64 v[18:19], v[21:22], v[65:66], -v[81:82]
	v_fma_f64 v[29:30], v[23:24], v[65:66], v[67:68]
	v_add_f64 v[65:66], v[85:86], -v[75:76]
	v_fma_f64 v[23:24], v[25:26], 2.0, -v[43:44]
	v_add_f64 v[25:26], v[71:72], -v[51:52]
	v_add_f64 v[67:68], v[87:88], -v[49:50]
	v_fma_f64 v[21:22], v[63:64], 2.0, -v[41:42]
	v_fma_f64 v[49:50], v[55:56], 2.0, -v[45:46]
	;; [unrolled: 1-line block ×5, first 2 shown]
	v_add_f64 v[73:74], v[39:40], -v[61:62]
	v_fma_f64 v[63:64], v[71:72], 2.0, -v[25:26]
	v_add_f64 v[71:72], v[37:38], -v[79:80]
	v_add_f64 v[18:19], v[77:78], -v[18:19]
	;; [unrolled: 1-line block ×3, first 2 shown]
	v_fma_f64 v[59:60], v[87:88], 2.0, -v[67:68]
	ds_write_b128 v7, v[21:24]
	ds_write_b128 v7, v[49:52] offset:576
	ds_write_b128 v7, v[41:44] offset:1152
	v_add_f64 v[21:22], v[55:56], -v[63:64]
	v_fma_f64 v[61:62], v[37:38], 2.0, -v[71:72]
	v_fma_f64 v[63:64], v[39:40], 2.0, -v[73:74]
	;; [unrolled: 1-line block ×4, first 2 shown]
	v_add_f64 v[23:24], v[59:60], -v[69:70]
	v_add_f64 v[41:42], v[65:66], -v[53:54]
	v_add_f64 v[43:44], v[67:68], v[25:26]
	ds_write_b128 v7, v[45:48] offset:1728
	v_fma_f64 v[37:38], v[55:56], 2.0, -v[21:22]
	v_mov_b32_e32 v55, 0x900
	v_add_f64 v[45:46], v[61:62], -v[49:50]
	v_add_f64 v[47:48], v[63:64], -v[51:52]
	;; [unrolled: 1-line block ×3, first 2 shown]
	v_add_f64 v[51:52], v[73:74], v[18:19]
	v_fma_f64 v[39:40], v[59:60], 2.0, -v[23:24]
	v_cndmask_b32_e32 v18, 0, v55, vcc
	v_fma_f64 v[53:54], v[65:66], 2.0, -v[41:42]
	v_fma_f64 v[55:56], v[67:68], 2.0, -v[43:44]
	v_fma_f64 v[57:58], v[61:62], 2.0, -v[45:46]
	v_fma_f64 v[59:60], v[63:64], 2.0, -v[47:48]
	v_fma_f64 v[61:62], v[71:72], 2.0, -v[49:50]
	v_fma_f64 v[63:64], v[73:74], 2.0, -v[51:52]
	v_add_u32_e32 v18, 0, v18
	v_lshlrev_b32_e32 v19, 4, v101
	v_lshlrev_b64 v[25:26], 4, v[10:11]
	v_add3_u32 v18, v18, v19, v20
	ds_write_b128 v18, v[37:40]
	ds_write_b128 v18, v[53:56] offset:576
	ds_write_b128 v18, v[21:24] offset:1152
	;; [unrolled: 1-line block ×7, first 2 shown]
	v_add_co_u32_e32 v18, vcc, s12, v25
	v_lshlrev_b64 v[23:24], 4, v[14:15]
	v_addc_co_u32_e32 v19, vcc, v28, v26, vcc
	v_add_co_u32_e32 v20, vcc, s12, v23
	s_waitcnt lgkmcnt(0)
	s_barrier
	v_addc_co_u32_e32 v21, vcc, v28, v24, vcc
	global_load_dwordx4 v[37:40], v[18:19], off offset:2208
	global_load_dwordx4 v[41:44], v[20:21], off offset:2208
	v_lshlrev_b64 v[21:22], 4, v[16:17]
	v_lshlrev_b64 v[19:20], 4, v[5:6]
	v_add_co_u32_e32 v15, vcc, s12, v21
	v_addc_co_u32_e32 v16, vcc, v28, v22, vcc
	v_add_co_u32_e32 v5, vcc, s12, v19
	v_addc_co_u32_e32 v6, vcc, v28, v20, vcc
	global_load_dwordx4 v[45:48], v[15:16], off offset:2208
	global_load_dwordx4 v[49:52], v[5:6], off offset:2208
	v_lshlrev_b64 v[17:18], 4, v[3:4]
	v_lshlrev_b64 v[15:16], 4, v[1:2]
	v_add_co_u32_e32 v3, vcc, s12, v17
	v_addc_co_u32_e32 v4, vcc, v28, v18, vcc
	global_load_dwordx4 v[1:4], v[3:4], off offset:2208
	v_add_co_u32_e32 v5, vcc, s12, v15
	v_addc_co_u32_e32 v6, vcc, v28, v16, vcc
	global_load_dwordx4 v[53:56], v[5:6], off offset:2208
	ds_read_b128 v[57:60], v7 offset:2304
	ds_read_b128 v[61:64], v7 offset:2688
	ds_read_b128 v[65:68], v32
	ds_read_b128 v[69:72], v7 offset:3072
	ds_read_b128 v[73:76], v7 offset:3456
	;; [unrolled: 1-line block ×3, first 2 shown]
	v_sub_u32_e32 v11, v31, v0
	v_cmp_ne_u32_e32 vcc, 0, v10
	s_waitcnt vmcnt(5) lgkmcnt(5)
	v_mul_f64 v[5:6], v[59:60], v[39:40]
	v_mul_f64 v[28:29], v[57:58], v[39:40]
	s_waitcnt vmcnt(4) lgkmcnt(4)
	v_mul_f64 v[39:40], v[63:64], v[43:44]
	v_mul_f64 v[43:44], v[61:62], v[43:44]
	v_fma_f64 v[57:58], v[57:58], v[37:38], -v[5:6]
	v_fma_f64 v[28:29], v[59:60], v[37:38], v[28:29]
	v_fma_f64 v[59:60], v[61:62], v[41:42], -v[39:40]
	ds_read_b128 v[37:40], v7 offset:4224
	s_waitcnt vmcnt(3) lgkmcnt(3)
	v_mul_f64 v[81:82], v[71:72], v[47:48]
	v_mul_f64 v[47:48], v[69:70], v[47:48]
	s_waitcnt vmcnt(2) lgkmcnt(2)
	v_mul_f64 v[83:84], v[75:76], v[51:52]
	v_mul_f64 v[5:6], v[73:74], v[51:52]
	v_fma_f64 v[61:62], v[63:64], v[41:42], v[43:44]
	ds_read_b128 v[41:44], v27
	v_fma_f64 v[69:70], v[69:70], v[45:46], -v[81:82]
	v_fma_f64 v[71:72], v[71:72], v[45:46], v[47:48]
	v_fma_f64 v[73:74], v[73:74], v[49:50], -v[83:84]
	s_waitcnt vmcnt(1) lgkmcnt(2)
	v_mul_f64 v[63:64], v[79:80], v[3:4]
	v_add_f64 v[45:46], v[65:66], -v[57:58]
	s_waitcnt vmcnt(0) lgkmcnt(1)
	v_mul_f64 v[83:84], v[39:40], v[55:56]
	v_mul_f64 v[85:86], v[37:38], v[55:56]
	v_add_f64 v[47:48], v[67:68], -v[28:29]
	v_fma_f64 v[75:76], v[75:76], v[49:50], v[5:6]
	ds_read_b128 v[49:52], v33
	s_waitcnt lgkmcnt(1)
	v_add_f64 v[55:56], v[41:42], -v[59:60]
	v_add_f64 v[57:58], v[43:44], -v[61:62]
	v_mul_f64 v[81:82], v[77:78], v[3:4]
	v_fma_f64 v[28:29], v[77:78], v[1:2], -v[63:64]
	v_fma_f64 v[77:78], v[37:38], v[53:54], -v[83:84]
	v_fma_f64 v[53:54], v[39:40], v[53:54], v[85:86]
	v_fma_f64 v[37:38], v[65:66], 2.0, -v[45:46]
	v_fma_f64 v[39:40], v[67:68], 2.0, -v[47:48]
	;; [unrolled: 1-line block ×4, first 2 shown]
	ds_read_b128 v[3:6], v34
	v_fma_f64 v[1:2], v[79:80], v[1:2], v[81:82]
	ds_read_b128 v[59:62], v36
	ds_read_b128 v[63:66], v35
	s_waitcnt lgkmcnt(0)
	s_barrier
	ds_write_b128 v7, v[37:40]
	ds_write_b128 v7, v[45:48] offset:2304
	ds_write_b128 v27, v[41:44]
	v_add_f64 v[37:38], v[3:4], -v[69:70]
	v_add_f64 v[39:40], v[5:6], -v[71:72]
	;; [unrolled: 1-line block ×8, first 2 shown]
	v_fma_f64 v[1:2], v[3:4], 2.0, -v[37:38]
	v_fma_f64 v[3:4], v[5:6], 2.0, -v[39:40]
	;; [unrolled: 1-line block ×8, first 2 shown]
	ds_write_b128 v27, v[55:58] offset:2304
	ds_write_b128 v34, v[1:4]
	ds_write_b128 v34, v[37:40] offset:2304
	ds_write_b128 v36, v[59:62]
	;; [unrolled: 2-line block ×4, first 2 shown]
	ds_write_b128 v35, v[67:70] offset:2304
	s_waitcnt lgkmcnt(0)
	s_barrier
	ds_read_b128 v[4:7], v32
                                        ; implicit-def: $vgpr27_vgpr28
                                        ; implicit-def: $vgpr29_vgpr30
                                        ; implicit-def: $vgpr0_vgpr1
	s_and_saveexec_b64 s[4:5], vcc
	s_xor_b64 s[4:5], exec, s[4:5]
	s_cbranch_execz .LBB0_14
; %bb.13:
	v_mov_b32_e32 v1, s7
	v_add_co_u32_e32 v0, vcc, s6, v25
	v_addc_co_u32_e32 v1, vcc, v1, v26, vcc
	global_load_dwordx4 v[25:28], v[0:1], off
	ds_read_b128 v[0:3], v11 offset:4608
	s_waitcnt lgkmcnt(0)
	v_add_f64 v[29:30], v[4:5], -v[0:1]
	v_add_f64 v[37:38], v[6:7], v[2:3]
	v_add_f64 v[2:3], v[6:7], -v[2:3]
	v_add_f64 v[0:1], v[4:5], v[0:1]
	v_mul_f64 v[6:7], v[29:30], 0.5
	v_mul_f64 v[4:5], v[37:38], 0.5
	;; [unrolled: 1-line block ×3, first 2 shown]
	s_waitcnt vmcnt(0)
	v_mul_f64 v[29:30], v[6:7], v[27:28]
	v_fma_f64 v[37:38], v[4:5], v[27:28], v[2:3]
	v_fma_f64 v[2:3], v[4:5], v[27:28], -v[2:3]
	v_fma_f64 v[39:40], v[0:1], 0.5, v[29:30]
	v_fma_f64 v[0:1], v[0:1], 0.5, -v[29:30]
	v_fma_f64 v[29:30], -v[25:26], v[6:7], v[37:38]
	v_fma_f64 v[2:3], -v[25:26], v[6:7], v[2:3]
	v_fma_f64 v[27:28], v[4:5], v[25:26], v[39:40]
	v_fma_f64 v[0:1], -v[4:5], v[25:26], v[0:1]
                                        ; implicit-def: $vgpr4_vgpr5
.LBB0_14:
	s_andn2_saveexec_b64 s[4:5], s[4:5]
	s_cbranch_execz .LBB0_16
; %bb.15:
	s_waitcnt lgkmcnt(0)
	v_add_f64 v[27:28], v[4:5], v[6:7]
	ds_read_b64 v[2:3], v31 offset:2312
	v_add_f64 v[0:1], v[4:5], -v[6:7]
	v_mov_b32_e32 v29, 0
	v_mov_b32_e32 v30, 0
	s_waitcnt lgkmcnt(0)
	v_xor_b32_e32 v3, 0x80000000, v3
	ds_write_b64 v31, v[2:3] offset:2312
	v_mov_b32_e32 v2, v29
	v_mov_b32_e32 v3, v30
.LBB0_16:
	s_or_b64 exec, exec, s[4:5]
	s_waitcnt lgkmcnt(0)
	v_mov_b32_e32 v5, s7
	v_add_co_u32_e32 v4, vcc, s6, v23
	v_addc_co_u32_e32 v5, vcc, v5, v24, vcc
	global_load_dwordx4 v[4:7], v[4:5], off
	v_mov_b32_e32 v23, s7
	v_add_co_u32_e32 v21, vcc, s6, v21
	v_addc_co_u32_e32 v22, vcc, v23, v22, vcc
	global_load_dwordx4 v[21:24], v[21:22], off
	ds_write2_b64 v32, v[27:28], v[29:30] offset1:1
	ds_write_b128 v11, v[0:3] offset:4608
	v_lshl_add_u32 v14, v14, 4, v31
	ds_read_b128 v[0:3], v14
	ds_read_b128 v[25:28], v11 offset:4224
	v_mov_b32_e32 v32, s7
	s_waitcnt lgkmcnt(0)
	v_add_f64 v[29:30], v[0:1], -v[25:26]
	v_add_f64 v[37:38], v[2:3], v[27:28]
	v_add_f64 v[2:3], v[2:3], -v[27:28]
	v_add_f64 v[0:1], v[0:1], v[25:26]
	v_mul_f64 v[27:28], v[29:30], 0.5
	v_mul_f64 v[29:30], v[37:38], 0.5
	;; [unrolled: 1-line block ×3, first 2 shown]
	s_waitcnt vmcnt(1)
	v_mul_f64 v[25:26], v[27:28], v[6:7]
	v_fma_f64 v[37:38], v[29:30], v[6:7], v[2:3]
	v_fma_f64 v[6:7], v[29:30], v[6:7], -v[2:3]
	v_fma_f64 v[39:40], v[0:1], 0.5, v[25:26]
	v_fma_f64 v[25:26], v[0:1], 0.5, -v[25:26]
	v_add_co_u32_e32 v0, vcc, s6, v19
	v_addc_co_u32_e32 v1, vcc, v32, v20, vcc
	global_load_dwordx4 v[0:3], v[0:1], off
	v_fma_f64 v[19:20], -v[4:5], v[27:28], v[37:38]
	v_fma_f64 v[6:7], -v[4:5], v[27:28], v[6:7]
	v_fma_f64 v[27:28], v[29:30], v[4:5], v[39:40]
	v_fma_f64 v[4:5], -v[29:30], v[4:5], v[25:26]
	ds_write2_b64 v14, v[27:28], v[19:20] offset1:1
	ds_write_b128 v11, v[4:7] offset:4224
	ds_read_b128 v[4:7], v34
	ds_read_b128 v[25:28], v11 offset:3840
	v_mov_b32_e32 v14, s7
	s_waitcnt lgkmcnt(0)
	v_add_f64 v[19:20], v[4:5], -v[25:26]
	v_add_f64 v[29:30], v[6:7], v[27:28]
	v_add_f64 v[6:7], v[6:7], -v[27:28]
	v_add_f64 v[4:5], v[4:5], v[25:26]
	v_mul_f64 v[19:20], v[19:20], 0.5
	v_mul_f64 v[27:28], v[29:30], 0.5
	;; [unrolled: 1-line block ×3, first 2 shown]
	s_waitcnt vmcnt(1)
	v_mul_f64 v[25:26], v[19:20], v[23:24]
	v_fma_f64 v[29:30], v[27:28], v[23:24], v[6:7]
	v_fma_f64 v[23:24], v[27:28], v[23:24], -v[6:7]
	v_fma_f64 v[37:38], v[4:5], 0.5, v[25:26]
	v_fma_f64 v[25:26], v[4:5], 0.5, -v[25:26]
	v_add_co_u32_e32 v4, vcc, s6, v17
	v_addc_co_u32_e32 v5, vcc, v14, v18, vcc
	global_load_dwordx4 v[4:7], v[4:5], off
	v_fma_f64 v[29:30], -v[21:22], v[19:20], v[29:30]
	v_fma_f64 v[19:20], -v[21:22], v[19:20], v[23:24]
	v_fma_f64 v[23:24], v[27:28], v[21:22], v[37:38]
	v_fma_f64 v[17:18], -v[27:28], v[21:22], v[25:26]
	v_add_co_u32_e32 v14, vcc, s6, v15
	ds_write2_b64 v34, v[23:24], v[29:30] offset1:1
	ds_write_b128 v11, v[17:20] offset:3840
	ds_read_b128 v[17:20], v36
	ds_read_b128 v[21:24], v11 offset:3456
	v_mov_b32_e32 v29, s7
	v_addc_co_u32_e32 v15, vcc, v29, v16, vcc
	s_waitcnt lgkmcnt(0)
	v_add_f64 v[25:26], v[17:18], -v[21:22]
	v_add_f64 v[27:28], v[19:20], v[23:24]
	v_add_f64 v[19:20], v[19:20], -v[23:24]
	v_add_f64 v[17:18], v[17:18], v[21:22]
	v_mul_f64 v[23:24], v[25:26], 0.5
	v_mul_f64 v[25:26], v[27:28], 0.5
	;; [unrolled: 1-line block ×3, first 2 shown]
	s_waitcnt vmcnt(1)
	v_mul_f64 v[21:22], v[23:24], v[2:3]
	v_fma_f64 v[27:28], v[25:26], v[2:3], v[19:20]
	v_fma_f64 v[2:3], v[25:26], v[2:3], -v[19:20]
	v_fma_f64 v[19:20], v[17:18], 0.5, v[21:22]
	v_fma_f64 v[21:22], v[17:18], 0.5, -v[21:22]
	global_load_dwordx4 v[14:17], v[14:15], off
	v_fma_f64 v[27:28], -v[0:1], v[23:24], v[27:28]
	v_fma_f64 v[2:3], -v[0:1], v[23:24], v[2:3]
	v_fma_f64 v[18:19], v[25:26], v[0:1], v[19:20]
	v_fma_f64 v[0:1], -v[25:26], v[0:1], v[21:22]
	ds_write2_b64 v36, v[18:19], v[27:28] offset1:1
	ds_write_b128 v11, v[0:3] offset:3456
	ds_read_b128 v[0:3], v33
	ds_read_b128 v[18:21], v11 offset:3072
	s_waitcnt lgkmcnt(0)
	v_add_f64 v[22:23], v[0:1], -v[18:19]
	v_add_f64 v[24:25], v[2:3], v[20:21]
	v_add_f64 v[2:3], v[2:3], -v[20:21]
	v_add_f64 v[0:1], v[0:1], v[18:19]
	v_mul_f64 v[20:21], v[22:23], 0.5
	v_mul_f64 v[22:23], v[24:25], 0.5
	;; [unrolled: 1-line block ×3, first 2 shown]
	s_waitcnt vmcnt(1)
	v_mul_f64 v[18:19], v[20:21], v[6:7]
	v_fma_f64 v[24:25], v[22:23], v[6:7], v[2:3]
	v_fma_f64 v[2:3], v[22:23], v[6:7], -v[2:3]
	v_fma_f64 v[6:7], v[0:1], 0.5, v[18:19]
	v_fma_f64 v[0:1], v[0:1], 0.5, -v[18:19]
	v_fma_f64 v[18:19], -v[4:5], v[20:21], v[24:25]
	v_fma_f64 v[2:3], -v[4:5], v[20:21], v[2:3]
	v_fma_f64 v[6:7], v[22:23], v[4:5], v[6:7]
	v_fma_f64 v[0:1], -v[22:23], v[4:5], v[0:1]
	ds_write2_b64 v33, v[6:7], v[18:19] offset1:1
	ds_write_b128 v11, v[0:3] offset:3072
	ds_read_b128 v[0:3], v35
	ds_read_b128 v[4:7], v11 offset:2688
	s_waitcnt lgkmcnt(0)
	v_add_f64 v[18:19], v[0:1], -v[4:5]
	v_add_f64 v[20:21], v[2:3], v[6:7]
	v_add_f64 v[2:3], v[2:3], -v[6:7]
	v_add_f64 v[0:1], v[0:1], v[4:5]
	v_mul_f64 v[6:7], v[18:19], 0.5
	v_mul_f64 v[18:19], v[20:21], 0.5
	;; [unrolled: 1-line block ×3, first 2 shown]
	s_waitcnt vmcnt(0)
	v_mul_f64 v[4:5], v[6:7], v[16:17]
	v_fma_f64 v[20:21], v[18:19], v[16:17], v[2:3]
	v_fma_f64 v[2:3], v[18:19], v[16:17], -v[2:3]
	v_fma_f64 v[16:17], v[0:1], 0.5, v[4:5]
	v_fma_f64 v[0:1], v[0:1], 0.5, -v[4:5]
	v_fma_f64 v[4:5], -v[14:15], v[6:7], v[20:21]
	v_fma_f64 v[2:3], -v[14:15], v[6:7], v[2:3]
	v_fma_f64 v[6:7], v[18:19], v[14:15], v[16:17]
	v_fma_f64 v[0:1], -v[18:19], v[14:15], v[0:1]
	ds_write2_b64 v35, v[6:7], v[4:5] offset1:1
	ds_write_b128 v11, v[0:3] offset:2688
	s_waitcnt lgkmcnt(0)
	s_barrier
	s_and_saveexec_b64 s[4:5], s[0:1]
	s_cbranch_execz .LBB0_19
; %bb.17:
	v_mul_lo_u32 v0, s3, v12
	v_mul_lo_u32 v3, s2, v13
	v_mad_u64_u32 v[1:2], s[0:1], s2, v12, 0
	v_mov_b32_e32 v7, s11
	v_mov_b32_e32 v11, 0
	v_add3_u32 v2, v2, v3, v0
	v_lshlrev_b64 v[1:2], 4, v[1:2]
	v_lshl_add_u32 v0, v10, 4, v31
	v_add_co_u32_e32 v1, vcc, s10, v1
	v_addc_co_u32_e32 v12, vcc, v7, v2, vcc
	v_lshlrev_b64 v[7:8], 4, v[8:9]
	ds_read_b128 v[3:6], v0
	v_add_co_u32_e32 v2, vcc, v1, v7
	v_addc_co_u32_e32 v1, vcc, v12, v8, vcc
	ds_read_b128 v[12:15], v0 offset:384
	v_lshlrev_b64 v[7:8], 4, v[10:11]
	v_add_co_u32_e32 v7, vcc, v2, v7
	v_addc_co_u32_e32 v8, vcc, v1, v8, vcc
	s_waitcnt lgkmcnt(1)
	global_store_dwordx4 v[7:8], v[3:6], off
	v_add_u32_e32 v7, 48, v10
	v_add_u32_e32 v3, 24, v10
	v_mov_b32_e32 v4, v11
	v_lshlrev_b64 v[3:4], 4, v[3:4]
	v_mov_b32_e32 v8, v11
	v_add_co_u32_e32 v3, vcc, v2, v3
	v_addc_co_u32_e32 v4, vcc, v1, v4, vcc
	s_waitcnt lgkmcnt(0)
	global_store_dwordx4 v[3:4], v[12:15], off
	ds_read_b128 v[3:6], v0 offset:768
	ds_read_b128 v[12:15], v0 offset:1152
	v_lshlrev_b64 v[7:8], 4, v[7:8]
	v_add_co_u32_e32 v7, vcc, v2, v7
	v_addc_co_u32_e32 v8, vcc, v1, v8, vcc
	s_waitcnt lgkmcnt(1)
	global_store_dwordx4 v[7:8], v[3:6], off
	v_add_u32_e32 v7, 0x60, v10
	v_add_u32_e32 v3, 0x48, v10
	v_mov_b32_e32 v4, v11
	v_lshlrev_b64 v[3:4], 4, v[3:4]
	v_mov_b32_e32 v8, v11
	v_add_co_u32_e32 v3, vcc, v2, v3
	v_addc_co_u32_e32 v4, vcc, v1, v4, vcc
	s_waitcnt lgkmcnt(0)
	global_store_dwordx4 v[3:4], v[12:15], off
	ds_read_b128 v[3:6], v0 offset:1536
	;; [unrolled: 16-line block ×5, first 2 shown]
	ds_read_b128 v[12:15], v0 offset:4224
	v_lshlrev_b64 v[7:8], 4, v[7:8]
	v_add_co_u32_e32 v7, vcc, v2, v7
	v_addc_co_u32_e32 v8, vcc, v1, v8, vcc
	s_waitcnt lgkmcnt(1)
	global_store_dwordx4 v[7:8], v[3:6], off
	s_nop 0
	v_add_u32_e32 v3, 0x108, v10
	v_mov_b32_e32 v4, v11
	v_lshlrev_b64 v[3:4], 4, v[3:4]
	v_add_co_u32_e32 v3, vcc, v2, v3
	v_addc_co_u32_e32 v4, vcc, v1, v4, vcc
	v_cmp_eq_u32_e32 vcc, 23, v10
	s_waitcnt lgkmcnt(0)
	global_store_dwordx4 v[3:4], v[12:15], off
	s_and_b64 exec, exec, vcc
	s_cbranch_execz .LBB0_19
; %bb.18:
	ds_read_b128 v[3:6], v0 offset:4240
	v_add_co_u32_e32 v0, vcc, 0x1000, v2
	v_addc_co_u32_e32 v1, vcc, 0, v1, vcc
	s_waitcnt lgkmcnt(0)
	global_store_dwordx4 v[0:1], v[3:6], off offset:512
.LBB0_19:
	s_endpgm
	.section	.rodata,"a",@progbits
	.p2align	6, 0x0
	.amdhsa_kernel fft_rtc_fwd_len288_factors_6_6_4_2_wgs_120_tpt_24_halfLds_dp_op_CI_CI_unitstride_sbrr_R2C_dirReg
		.amdhsa_group_segment_fixed_size 0
		.amdhsa_private_segment_fixed_size 0
		.amdhsa_kernarg_size 104
		.amdhsa_user_sgpr_count 6
		.amdhsa_user_sgpr_private_segment_buffer 1
		.amdhsa_user_sgpr_dispatch_ptr 0
		.amdhsa_user_sgpr_queue_ptr 0
		.amdhsa_user_sgpr_kernarg_segment_ptr 1
		.amdhsa_user_sgpr_dispatch_id 0
		.amdhsa_user_sgpr_flat_scratch_init 0
		.amdhsa_user_sgpr_private_segment_size 0
		.amdhsa_uses_dynamic_stack 0
		.amdhsa_system_sgpr_private_segment_wavefront_offset 0
		.amdhsa_system_sgpr_workgroup_id_x 1
		.amdhsa_system_sgpr_workgroup_id_y 0
		.amdhsa_system_sgpr_workgroup_id_z 0
		.amdhsa_system_sgpr_workgroup_info 0
		.amdhsa_system_vgpr_workitem_id 0
		.amdhsa_next_free_vgpr 113
		.amdhsa_next_free_sgpr 28
		.amdhsa_reserve_vcc 1
		.amdhsa_reserve_flat_scratch 0
		.amdhsa_float_round_mode_32 0
		.amdhsa_float_round_mode_16_64 0
		.amdhsa_float_denorm_mode_32 3
		.amdhsa_float_denorm_mode_16_64 3
		.amdhsa_dx10_clamp 1
		.amdhsa_ieee_mode 1
		.amdhsa_fp16_overflow 0
		.amdhsa_exception_fp_ieee_invalid_op 0
		.amdhsa_exception_fp_denorm_src 0
		.amdhsa_exception_fp_ieee_div_zero 0
		.amdhsa_exception_fp_ieee_overflow 0
		.amdhsa_exception_fp_ieee_underflow 0
		.amdhsa_exception_fp_ieee_inexact 0
		.amdhsa_exception_int_div_zero 0
	.end_amdhsa_kernel
	.text
.Lfunc_end0:
	.size	fft_rtc_fwd_len288_factors_6_6_4_2_wgs_120_tpt_24_halfLds_dp_op_CI_CI_unitstride_sbrr_R2C_dirReg, .Lfunc_end0-fft_rtc_fwd_len288_factors_6_6_4_2_wgs_120_tpt_24_halfLds_dp_op_CI_CI_unitstride_sbrr_R2C_dirReg
                                        ; -- End function
	.section	.AMDGPU.csdata,"",@progbits
; Kernel info:
; codeLenInByte = 8160
; NumSgprs: 32
; NumVgprs: 113
; ScratchSize: 0
; MemoryBound: 0
; FloatMode: 240
; IeeeMode: 1
; LDSByteSize: 0 bytes/workgroup (compile time only)
; SGPRBlocks: 3
; VGPRBlocks: 28
; NumSGPRsForWavesPerEU: 32
; NumVGPRsForWavesPerEU: 113
; Occupancy: 2
; WaveLimiterHint : 1
; COMPUTE_PGM_RSRC2:SCRATCH_EN: 0
; COMPUTE_PGM_RSRC2:USER_SGPR: 6
; COMPUTE_PGM_RSRC2:TRAP_HANDLER: 0
; COMPUTE_PGM_RSRC2:TGID_X_EN: 1
; COMPUTE_PGM_RSRC2:TGID_Y_EN: 0
; COMPUTE_PGM_RSRC2:TGID_Z_EN: 0
; COMPUTE_PGM_RSRC2:TIDIG_COMP_CNT: 0
	.type	__hip_cuid_7beb4ab366069047,@object ; @__hip_cuid_7beb4ab366069047
	.section	.bss,"aw",@nobits
	.globl	__hip_cuid_7beb4ab366069047
__hip_cuid_7beb4ab366069047:
	.byte	0                               ; 0x0
	.size	__hip_cuid_7beb4ab366069047, 1

	.ident	"AMD clang version 19.0.0git (https://github.com/RadeonOpenCompute/llvm-project roc-6.4.0 25133 c7fe45cf4b819c5991fe208aaa96edf142730f1d)"
	.section	".note.GNU-stack","",@progbits
	.addrsig
	.addrsig_sym __hip_cuid_7beb4ab366069047
	.amdgpu_metadata
---
amdhsa.kernels:
  - .args:
      - .actual_access:  read_only
        .address_space:  global
        .offset:         0
        .size:           8
        .value_kind:     global_buffer
      - .offset:         8
        .size:           8
        .value_kind:     by_value
      - .actual_access:  read_only
        .address_space:  global
        .offset:         16
        .size:           8
        .value_kind:     global_buffer
      - .actual_access:  read_only
        .address_space:  global
        .offset:         24
        .size:           8
        .value_kind:     global_buffer
      - .actual_access:  read_only
        .address_space:  global
        .offset:         32
        .size:           8
        .value_kind:     global_buffer
      - .offset:         40
        .size:           8
        .value_kind:     by_value
      - .actual_access:  read_only
        .address_space:  global
        .offset:         48
        .size:           8
        .value_kind:     global_buffer
      - .actual_access:  read_only
        .address_space:  global
        .offset:         56
        .size:           8
        .value_kind:     global_buffer
      - .offset:         64
        .size:           4
        .value_kind:     by_value
      - .actual_access:  read_only
        .address_space:  global
        .offset:         72
        .size:           8
        .value_kind:     global_buffer
      - .actual_access:  read_only
        .address_space:  global
        .offset:         80
        .size:           8
        .value_kind:     global_buffer
      - .actual_access:  read_only
        .address_space:  global
        .offset:         88
        .size:           8
        .value_kind:     global_buffer
      - .actual_access:  write_only
        .address_space:  global
        .offset:         96
        .size:           8
        .value_kind:     global_buffer
    .group_segment_fixed_size: 0
    .kernarg_segment_align: 8
    .kernarg_segment_size: 104
    .language:       OpenCL C
    .language_version:
      - 2
      - 0
    .max_flat_workgroup_size: 120
    .name:           fft_rtc_fwd_len288_factors_6_6_4_2_wgs_120_tpt_24_halfLds_dp_op_CI_CI_unitstride_sbrr_R2C_dirReg
    .private_segment_fixed_size: 0
    .sgpr_count:     32
    .sgpr_spill_count: 0
    .symbol:         fft_rtc_fwd_len288_factors_6_6_4_2_wgs_120_tpt_24_halfLds_dp_op_CI_CI_unitstride_sbrr_R2C_dirReg.kd
    .uniform_work_group_size: 1
    .uses_dynamic_stack: false
    .vgpr_count:     113
    .vgpr_spill_count: 0
    .wavefront_size: 64
amdhsa.target:   amdgcn-amd-amdhsa--gfx906
amdhsa.version:
  - 1
  - 2
...

	.end_amdgpu_metadata
